;; amdgpu-corpus repo=zjin-lcf/HeCBench kind=compiled arch=gfx906 opt=O3
	.amdgcn_target "amdgcn-amd-amdhsa--gfx906"
	.amdhsa_code_object_version 6
	.text
	.protected	_Z21binomialOptionsKernelPK13__TOptionDataPf ; -- Begin function _Z21binomialOptionsKernelPK13__TOptionDataPf
	.globl	_Z21binomialOptionsKernelPK13__TOptionDataPf
	.p2align	8
	.type	_Z21binomialOptionsKernelPK13__TOptionDataPf,@function
_Z21binomialOptionsKernelPK13__TOptionDataPf: ; @_Z21binomialOptionsKernelPK13__TOptionDataPf
; %bb.0:
	s_load_dwordx4 s[0:3], s[4:5], 0x0
	s_mul_i32 s5, s6, 20
	s_mul_hi_u32 s4, s6, 20
	s_mov_b32 s7, 0
	v_cmp_eq_u32_e32 vcc, 0, v0
	s_waitcnt lgkmcnt(0)
	s_add_u32 s0, s0, s5
	s_addc_u32 s1, s1, s4
	s_load_dwordx4 s[8:11], s[0:1], 0x0
	s_load_dword s12, s[0:1], 0x10
	s_and_saveexec_b64 s[0:1], vcc
	s_cbranch_execz .LBB0_2
; %bb.1:
	v_mov_b32_e32 v1, 0x45000000
	s_waitcnt lgkmcnt(0)
	v_mul_f32_e32 v1, s10, v1
	v_mul_f32_e32 v1, 0x3fb8aa3b, v1
	v_exp_f32_e32 v1, v1
	v_mov_b32_e32 v2, s9
	v_fma_f32 v1, s8, v1, -v2
	v_max_f32_e32 v1, 0, v1
	v_mov_b32_e32 v2, 0
	ds_write_b32 v2, v1 offset:512
.LBB0_2:
	s_or_b64 exec, exec, s[0:1]
	v_lshlrev_b32_e32 v15, 5, v0
	v_add_u32_e32 v16, 0xfffff81a, v15
	v_add_u32_e32 v1, 0xfffff800, v15
	;; [unrolled: 1-line block ×14, first 2 shown]
	v_cvt_f32_i32_e32 v16, v16
	v_add_u32_e32 v18, 0xfffff81c, v15
	v_add_u32_e32 v15, 0xfffff81e, v15
	v_cvt_f32_i32_e32 v2, v1
	v_cvt_f32_i32_e32 v3, v3
	v_cvt_f32_i32_e32 v4, v4
	v_cvt_f32_i32_e32 v5, v5
	v_cvt_f32_i32_e32 v6, v6
	v_cvt_f32_i32_e32 v7, v7
	v_cvt_f32_i32_e32 v8, v8
	v_cvt_f32_i32_e32 v9, v9
	v_cvt_f32_i32_e32 v10, v10
	v_cvt_f32_i32_e32 v11, v11
	v_cvt_f32_i32_e32 v12, v12
	v_cvt_f32_i32_e32 v13, v13
	v_cvt_f32_i32_e32 v14, v14
	v_cvt_f32_i32_e32 v18, v18
	v_cvt_f32_i32_e32 v15, v15
	s_waitcnt lgkmcnt(0)
	v_mul_f32_e32 v16, s10, v16
	v_mul_f32_e32 v2, s10, v2
	;; [unrolled: 1-line block ×30, first 2 shown]
	v_exp_f32_e32 v16, v16
	v_mul_f32_e32 v18, 0x3fb8aa3b, v18
	v_mul_f32_e32 v15, 0x3fb8aa3b, v15
	v_exp_f32_e32 v2, v2
	v_exp_f32_e32 v3, v3
	;; [unrolled: 1-line block ×15, first 2 shown]
	v_mov_b32_e32 v17, s9
	v_fma_f32 v16, s8, v16, -v17
	v_fma_f32 v2, s8, v2, -v17
	;; [unrolled: 1-line block ×14, first 2 shown]
	v_max_f32_e32 v15, 0, v16
	v_fma_f32 v16, s8, v18, -v17
	v_fma_f32 v17, s8, v19, -v17
	v_lshlrev_b32_e32 v1, 4, v0
	v_max_f32_e32 v2, 0, v2
	v_max_f32_e32 v3, 0, v3
	;; [unrolled: 1-line block ×15, first 2 shown]
	v_lshlrev_b32_e32 v0, 2, v0
	s_movk_i32 s8, 0x800
	s_branch .LBB0_4
.LBB0_3:                                ;   in Loop: Header=BB0_4 Depth=1
	s_or_b64 exec, exec, s[4:5]
	s_add_i32 s8, s9, -1
	s_cmp_eq_u32 s9, 1
	s_cbranch_scc1 .LBB0_36
.LBB0_4:                                ; =>This Inner Loop Header: Depth=1
	ds_write_b32 v0, v2
	s_waitcnt lgkmcnt(0)
	s_barrier
	ds_read_b32 v18, v0 offset:4
	v_cmp_ge_u32_e64 s[0:1], s8, v1
	s_waitcnt lgkmcnt(0)
	s_barrier
	s_and_saveexec_b64 s[4:5], s[0:1]
	s_cbranch_execz .LBB0_6
; %bb.5:                                ;   in Loop: Header=BB0_4 Depth=1
	v_mul_f32_e32 v2, s12, v2
	v_fmac_f32_e32 v2, s11, v3
	v_mul_f32_e32 v3, s12, v3
	v_fmac_f32_e32 v3, s11, v4
	;; [unrolled: 2-line block ×16, first 2 shown]
.LBB0_6:                                ;   in Loop: Header=BB0_4 Depth=1
	s_or_b64 exec, exec, s[4:5]
	ds_write_b32 v0, v2
	s_waitcnt lgkmcnt(0)
	s_barrier
	ds_read_b32 v18, v0 offset:4
	s_add_i32 s8, s8, -1
	v_cmp_ge_u32_e64 s[0:1], s8, v1
	s_waitcnt lgkmcnt(0)
	s_barrier
	s_and_saveexec_b64 s[4:5], s[0:1]
	s_cbranch_execz .LBB0_8
; %bb.7:                                ;   in Loop: Header=BB0_4 Depth=1
	v_mul_f32_e32 v2, s12, v2
	v_fmac_f32_e32 v2, s11, v3
	v_mul_f32_e32 v3, s12, v3
	v_fmac_f32_e32 v3, s11, v4
	;; [unrolled: 2-line block ×16, first 2 shown]
.LBB0_8:                                ;   in Loop: Header=BB0_4 Depth=1
	s_or_b64 exec, exec, s[4:5]
	ds_write_b32 v0, v2
	s_waitcnt lgkmcnt(0)
	s_barrier
	ds_read_b32 v18, v0 offset:4
	s_add_i32 s8, s8, -1
	v_cmp_ge_u32_e64 s[0:1], s8, v1
	s_waitcnt lgkmcnt(0)
	s_barrier
	s_and_saveexec_b64 s[4:5], s[0:1]
	s_cbranch_execz .LBB0_10
; %bb.9:                                ;   in Loop: Header=BB0_4 Depth=1
	v_mul_f32_e32 v2, s12, v2
	v_fmac_f32_e32 v2, s11, v3
	v_mul_f32_e32 v3, s12, v3
	v_fmac_f32_e32 v3, s11, v4
	;; [unrolled: 2-line block ×16, first 2 shown]
.LBB0_10:                               ;   in Loop: Header=BB0_4 Depth=1
	s_or_b64 exec, exec, s[4:5]
	ds_write_b32 v0, v2
	s_waitcnt lgkmcnt(0)
	s_barrier
	ds_read_b32 v18, v0 offset:4
	s_add_i32 s8, s8, -1
	v_cmp_ge_u32_e64 s[0:1], s8, v1
	s_waitcnt lgkmcnt(0)
	s_barrier
	s_and_saveexec_b64 s[4:5], s[0:1]
	s_cbranch_execz .LBB0_12
; %bb.11:                               ;   in Loop: Header=BB0_4 Depth=1
	v_mul_f32_e32 v2, s12, v2
	v_fmac_f32_e32 v2, s11, v3
	v_mul_f32_e32 v3, s12, v3
	v_fmac_f32_e32 v3, s11, v4
	v_mul_f32_e32 v4, s12, v4
	v_fmac_f32_e32 v4, s11, v5
	v_mul_f32_e32 v5, s12, v5
	v_fmac_f32_e32 v5, s11, v6
	v_mul_f32_e32 v6, s12, v6
	v_fmac_f32_e32 v6, s11, v7
	v_mul_f32_e32 v7, s12, v7
	v_fmac_f32_e32 v7, s11, v8
	v_mul_f32_e32 v8, s12, v8
	v_fmac_f32_e32 v8, s11, v9
	v_mul_f32_e32 v9, s12, v9
	v_fmac_f32_e32 v9, s11, v10
	v_mul_f32_e32 v10, s12, v10
	v_fmac_f32_e32 v10, s11, v11
	v_mul_f32_e32 v11, s12, v11
	v_fmac_f32_e32 v11, s11, v12
	v_mul_f32_e32 v12, s12, v12
	v_fmac_f32_e32 v12, s11, v13
	v_mul_f32_e32 v13, s12, v13
	v_fmac_f32_e32 v13, s11, v14
	v_mul_f32_e32 v14, s12, v14
	v_fmac_f32_e32 v14, s11, v15
	v_mul_f32_e32 v15, s12, v15
	v_fmac_f32_e32 v15, s11, v16
	v_mul_f32_e32 v16, s12, v16
	v_fmac_f32_e32 v16, s11, v17
	v_mul_f32_e32 v17, s12, v17
	v_fmac_f32_e32 v17, s11, v18
.LBB0_12:                               ;   in Loop: Header=BB0_4 Depth=1
	s_or_b64 exec, exec, s[4:5]
	ds_write_b32 v0, v2
	s_waitcnt lgkmcnt(0)
	s_barrier
	ds_read_b32 v18, v0 offset:4
	s_add_i32 s8, s8, -1
	v_cmp_ge_u32_e64 s[0:1], s8, v1
	s_waitcnt lgkmcnt(0)
	s_barrier
	s_and_saveexec_b64 s[4:5], s[0:1]
	s_cbranch_execz .LBB0_14
; %bb.13:                               ;   in Loop: Header=BB0_4 Depth=1
	v_mul_f32_e32 v2, s12, v2
	v_fmac_f32_e32 v2, s11, v3
	v_mul_f32_e32 v3, s12, v3
	v_fmac_f32_e32 v3, s11, v4
	v_mul_f32_e32 v4, s12, v4
	v_fmac_f32_e32 v4, s11, v5
	v_mul_f32_e32 v5, s12, v5
	v_fmac_f32_e32 v5, s11, v6
	v_mul_f32_e32 v6, s12, v6
	v_fmac_f32_e32 v6, s11, v7
	v_mul_f32_e32 v7, s12, v7
	v_fmac_f32_e32 v7, s11, v8
	v_mul_f32_e32 v8, s12, v8
	v_fmac_f32_e32 v8, s11, v9
	v_mul_f32_e32 v9, s12, v9
	v_fmac_f32_e32 v9, s11, v10
	v_mul_f32_e32 v10, s12, v10
	v_fmac_f32_e32 v10, s11, v11
	v_mul_f32_e32 v11, s12, v11
	v_fmac_f32_e32 v11, s11, v12
	v_mul_f32_e32 v12, s12, v12
	v_fmac_f32_e32 v12, s11, v13
	v_mul_f32_e32 v13, s12, v13
	v_fmac_f32_e32 v13, s11, v14
	v_mul_f32_e32 v14, s12, v14
	v_fmac_f32_e32 v14, s11, v15
	v_mul_f32_e32 v15, s12, v15
	v_fmac_f32_e32 v15, s11, v16
	v_mul_f32_e32 v16, s12, v16
	v_fmac_f32_e32 v16, s11, v17
	v_mul_f32_e32 v17, s12, v17
	v_fmac_f32_e32 v17, s11, v18
.LBB0_14:                               ;   in Loop: Header=BB0_4 Depth=1
	;; [unrolled: 45-line block ×12, first 2 shown]
	s_or_b64 exec, exec, s[4:5]
	ds_write_b32 v0, v2
	s_waitcnt lgkmcnt(0)
	s_barrier
	ds_read_b32 v18, v0 offset:4
	s_add_i32 s9, s8, -1
	v_cmp_ge_u32_e64 s[0:1], s9, v1
	s_waitcnt lgkmcnt(0)
	s_barrier
	s_and_saveexec_b64 s[4:5], s[0:1]
	s_cbranch_execz .LBB0_3
; %bb.35:                               ;   in Loop: Header=BB0_4 Depth=1
	v_mul_f32_e32 v2, s12, v2
	v_fmac_f32_e32 v2, s11, v3
	v_mul_f32_e32 v3, s12, v3
	v_fmac_f32_e32 v3, s11, v4
	v_mul_f32_e32 v4, s12, v4
	v_fmac_f32_e32 v4, s11, v5
	v_mul_f32_e32 v5, s12, v5
	v_fmac_f32_e32 v5, s11, v6
	v_mul_f32_e32 v6, s12, v6
	v_fmac_f32_e32 v6, s11, v7
	v_mul_f32_e32 v7, s12, v7
	v_fmac_f32_e32 v7, s11, v8
	v_mul_f32_e32 v8, s12, v8
	v_fmac_f32_e32 v8, s11, v9
	v_mul_f32_e32 v9, s12, v9
	v_fmac_f32_e32 v9, s11, v10
	v_mul_f32_e32 v10, s12, v10
	v_fmac_f32_e32 v10, s11, v11
	v_mul_f32_e32 v11, s12, v11
	v_fmac_f32_e32 v11, s11, v12
	v_mul_f32_e32 v12, s12, v12
	v_fmac_f32_e32 v12, s11, v13
	v_mul_f32_e32 v13, s12, v13
	v_fmac_f32_e32 v13, s11, v14
	v_mul_f32_e32 v14, s12, v14
	v_fmac_f32_e32 v14, s11, v15
	v_mul_f32_e32 v15, s12, v15
	v_fmac_f32_e32 v15, s11, v16
	v_mul_f32_e32 v16, s12, v16
	v_fmac_f32_e32 v16, s11, v17
	v_mul_f32_e32 v17, s12, v17
	v_fmac_f32_e32 v17, s11, v18
	s_branch .LBB0_3
.LBB0_36:
	s_and_saveexec_b64 s[0:1], vcc
	s_cbranch_execz .LBB0_38
; %bb.37:
	s_lshl_b64 s[0:1], s[6:7], 2
	s_add_u32 s0, s2, s0
	s_addc_u32 s1, s3, s1
	v_mov_b32_e32 v0, 0
	global_store_dword v0, v2, s[0:1]
.LBB0_38:
	s_endpgm
	.section	.rodata,"a",@progbits
	.p2align	6, 0x0
	.amdhsa_kernel _Z21binomialOptionsKernelPK13__TOptionDataPf
		.amdhsa_group_segment_fixed_size 516
		.amdhsa_private_segment_fixed_size 0
		.amdhsa_kernarg_size 16
		.amdhsa_user_sgpr_count 6
		.amdhsa_user_sgpr_private_segment_buffer 1
		.amdhsa_user_sgpr_dispatch_ptr 0
		.amdhsa_user_sgpr_queue_ptr 0
		.amdhsa_user_sgpr_kernarg_segment_ptr 1
		.amdhsa_user_sgpr_dispatch_id 0
		.amdhsa_user_sgpr_flat_scratch_init 0
		.amdhsa_user_sgpr_private_segment_size 0
		.amdhsa_uses_dynamic_stack 0
		.amdhsa_system_sgpr_private_segment_wavefront_offset 0
		.amdhsa_system_sgpr_workgroup_id_x 1
		.amdhsa_system_sgpr_workgroup_id_y 0
		.amdhsa_system_sgpr_workgroup_id_z 0
		.amdhsa_system_sgpr_workgroup_info 0
		.amdhsa_system_vgpr_workitem_id 0
		.amdhsa_next_free_vgpr 20
		.amdhsa_next_free_sgpr 13
		.amdhsa_reserve_vcc 1
		.amdhsa_reserve_flat_scratch 0
		.amdhsa_float_round_mode_32 0
		.amdhsa_float_round_mode_16_64 0
		.amdhsa_float_denorm_mode_32 3
		.amdhsa_float_denorm_mode_16_64 3
		.amdhsa_dx10_clamp 1
		.amdhsa_ieee_mode 1
		.amdhsa_fp16_overflow 0
		.amdhsa_exception_fp_ieee_invalid_op 0
		.amdhsa_exception_fp_denorm_src 0
		.amdhsa_exception_fp_ieee_div_zero 0
		.amdhsa_exception_fp_ieee_overflow 0
		.amdhsa_exception_fp_ieee_underflow 0
		.amdhsa_exception_fp_ieee_inexact 0
		.amdhsa_exception_int_div_zero 0
	.end_amdhsa_kernel
	.text
.Lfunc_end0:
	.size	_Z21binomialOptionsKernelPK13__TOptionDataPf, .Lfunc_end0-_Z21binomialOptionsKernelPK13__TOptionDataPf
                                        ; -- End function
	.set _Z21binomialOptionsKernelPK13__TOptionDataPf.num_vgpr, 20
	.set _Z21binomialOptionsKernelPK13__TOptionDataPf.num_agpr, 0
	.set _Z21binomialOptionsKernelPK13__TOptionDataPf.numbered_sgpr, 13
	.set _Z21binomialOptionsKernelPK13__TOptionDataPf.num_named_barrier, 0
	.set _Z21binomialOptionsKernelPK13__TOptionDataPf.private_seg_size, 0
	.set _Z21binomialOptionsKernelPK13__TOptionDataPf.uses_vcc, 1
	.set _Z21binomialOptionsKernelPK13__TOptionDataPf.uses_flat_scratch, 0
	.set _Z21binomialOptionsKernelPK13__TOptionDataPf.has_dyn_sized_stack, 0
	.set _Z21binomialOptionsKernelPK13__TOptionDataPf.has_recursion, 0
	.set _Z21binomialOptionsKernelPK13__TOptionDataPf.has_indirect_call, 0
	.section	.AMDGPU.csdata,"",@progbits
; Kernel info:
; codeLenInByte = 3780
; TotalNumSgprs: 17
; NumVgprs: 20
; ScratchSize: 0
; MemoryBound: 0
; FloatMode: 240
; IeeeMode: 1
; LDSByteSize: 516 bytes/workgroup (compile time only)
; SGPRBlocks: 2
; VGPRBlocks: 4
; NumSGPRsForWavesPerEU: 17
; NumVGPRsForWavesPerEU: 20
; Occupancy: 10
; WaveLimiterHint : 0
; COMPUTE_PGM_RSRC2:SCRATCH_EN: 0
; COMPUTE_PGM_RSRC2:USER_SGPR: 6
; COMPUTE_PGM_RSRC2:TRAP_HANDLER: 0
; COMPUTE_PGM_RSRC2:TGID_X_EN: 1
; COMPUTE_PGM_RSRC2:TGID_Y_EN: 0
; COMPUTE_PGM_RSRC2:TGID_Z_EN: 0
; COMPUTE_PGM_RSRC2:TIDIG_COMP_CNT: 0
	.section	.AMDGPU.gpr_maximums,"",@progbits
	.set amdgpu.max_num_vgpr, 0
	.set amdgpu.max_num_agpr, 0
	.set amdgpu.max_num_sgpr, 0
	.section	.AMDGPU.csdata,"",@progbits
	.type	__hip_cuid_6691151721104e92,@object ; @__hip_cuid_6691151721104e92
	.section	.bss,"aw",@nobits
	.globl	__hip_cuid_6691151721104e92
__hip_cuid_6691151721104e92:
	.byte	0                               ; 0x0
	.size	__hip_cuid_6691151721104e92, 1

	.ident	"AMD clang version 22.0.0git (https://github.com/RadeonOpenCompute/llvm-project roc-7.2.4 26084 f58b06dce1f9c15707c5f808fd002e18c2accf7e)"
	.section	".note.GNU-stack","",@progbits
	.addrsig
	.addrsig_sym __hip_cuid_6691151721104e92
	.amdgpu_metadata
---
amdhsa.kernels:
  - .args:
      - .actual_access:  read_only
        .address_space:  global
        .offset:         0
        .size:           8
        .value_kind:     global_buffer
      - .actual_access:  write_only
        .address_space:  global
        .offset:         8
        .size:           8
        .value_kind:     global_buffer
    .group_segment_fixed_size: 516
    .kernarg_segment_align: 8
    .kernarg_segment_size: 16
    .language:       OpenCL C
    .language_version:
      - 2
      - 0
    .max_flat_workgroup_size: 1024
    .name:           _Z21binomialOptionsKernelPK13__TOptionDataPf
    .private_segment_fixed_size: 0
    .sgpr_count:     17
    .sgpr_spill_count: 0
    .symbol:         _Z21binomialOptionsKernelPK13__TOptionDataPf.kd
    .uniform_work_group_size: 1
    .uses_dynamic_stack: false
    .vgpr_count:     20
    .vgpr_spill_count: 0
    .wavefront_size: 64
amdhsa.target:   amdgcn-amd-amdhsa--gfx906
amdhsa.version:
  - 1
  - 2
...

	.end_amdgpu_metadata
